;; amdgpu-corpus repo=ROCm/rocFFT kind=compiled arch=gfx1030 opt=O3
	.text
	.amdgcn_target "amdgcn-amd-amdhsa--gfx1030"
	.amdhsa_code_object_version 6
	.protected	bluestein_single_back_len99_dim1_dp_op_CI_CI ; -- Begin function bluestein_single_back_len99_dim1_dp_op_CI_CI
	.globl	bluestein_single_back_len99_dim1_dp_op_CI_CI
	.p2align	8
	.type	bluestein_single_back_len99_dim1_dp_op_CI_CI,@function
bluestein_single_back_len99_dim1_dp_op_CI_CI: ; @bluestein_single_back_len99_dim1_dp_op_CI_CI
; %bb.0:
	s_load_dwordx4 s[12:15], s[4:5], 0x28
	v_mul_u32_u24_e32 v1, 0x1746, v0
	s_mov_b64 s[42:43], s[2:3]
	s_mov_b64 s[40:41], s[0:1]
	s_add_u32 s40, s40, s7
	v_lshrrev_b32_e32 v1, 16, v1
	s_addc_u32 s41, s41, 0
	v_mad_u64_u32 v[144:145], null, s6, 20, v[1:2]
	v_mov_b32_e32 v145, 0
                                        ; kill: def $vgpr2 killed $sgpr0 killed $exec
	s_mov_b32 s0, exec_lo
	s_waitcnt lgkmcnt(0)
	v_cmpx_gt_u64_e64 s[12:13], v[144:145]
	s_cbranch_execz .LBB0_10
; %bb.1:
	s_load_dwordx4 s[0:3], s[4:5], 0x18
	v_mul_lo_u16 v1, v1, 11
	v_mul_hi_u32 v74, 0xcccccccd, v144
	s_mov_b32 s7, 0xbfebb67a
	v_mov_b32_e32 v127, 9
                                        ; implicit-def: $vgpr140_vgpr141
	v_sub_nc_u16 v52, v0, v1
	v_lshrrev_b32_e32 v74, 4, v74
	v_and_b32_e32 v241, 0xffff, v52
	v_mul_lo_u32 v74, v74, 20
	v_lshlrev_b32_e32 v53, 4, v241
	s_waitcnt lgkmcnt(0)
	s_load_dwordx4 s[8:11], s[0:1], 0x0
	v_sub_nc_u32_e32 v110, v144, v74
	v_mul_u32_u24_e32 v110, 0x63, v110
	v_lshlrev_b32_e32 v235, 4, v110
	v_add_nc_u32_e32 v236, v53, v235
	s_waitcnt lgkmcnt(0)
	v_mad_u64_u32 v[0:1], null, s10, v144, 0
	v_mad_u64_u32 v[2:3], null, s8, v241, 0
	s_mul_i32 s1, s9, 0x210
	s_mul_hi_u32 s6, s8, 0x210
	s_mul_i32 s0, s8, 0x210
	s_add_i32 s1, s6, s1
	s_mul_i32 s6, s9, 0xfffffc90
	v_mad_u64_u32 v[4:5], null, s11, v144, v[1:2]
	s_sub_i32 s6, s6, s8
	v_mad_u64_u32 v[5:6], null, s9, v241, v[3:4]
	v_mov_b32_e32 v1, v4
	v_lshlrev_b64 v[0:1], 4, v[0:1]
	v_mov_b32_e32 v3, v5
	v_add_co_u32 v0, vcc_lo, s14, v0
	v_lshlrev_b64 v[2:3], 4, v[2:3]
	v_add_co_ci_u32_e32 v1, vcc_lo, s15, v1, vcc_lo
	s_load_dwordx4 s[12:15], s[4:5], 0x0
	v_add_co_u32 v28, vcc_lo, v0, v2
	v_add_co_ci_u32_e32 v29, vcc_lo, v1, v3, vcc_lo
	s_waitcnt lgkmcnt(0)
	s_clause 0x2
	global_load_dwordx4 v[16:19], v53, s[12:13]
	global_load_dwordx4 v[4:7], v53, s[12:13] offset:176
	global_load_dwordx4 v[0:3], v53, s[12:13] offset:704
	v_add_co_u32 v30, vcc_lo, v28, s0
	v_add_co_ci_u32_e32 v31, vcc_lo, s1, v29, vcc_lo
	v_add_co_u32 v32, vcc_lo, v30, s0
	v_add_co_ci_u32_e32 v33, vcc_lo, s1, v31, vcc_lo
	v_mad_u64_u32 v[34:35], null, 0xfffffc90, s8, v[32:33]
	v_add_nc_u32_e32 v35, s6, v35
	v_add_co_u32 v54, vcc_lo, v34, s0
	s_clause 0x3
	global_load_dwordx4 v[20:23], v53, s[12:13] offset:1056
	global_load_dwordx4 v[8:11], v53, s[12:13] offset:1232
	;; [unrolled: 1-line block ×4, first 2 shown]
	s_clause 0x3
	global_load_dwordx4 v[36:39], v[28:29], off
	global_load_dwordx4 v[40:43], v[30:31], off
	;; [unrolled: 1-line block ×4, first 2 shown]
	v_add_co_ci_u32_e32 v55, vcc_lo, s1, v35, vcc_lo
	v_add_co_u32 v58, vcc_lo, v54, s0
	v_add_co_ci_u32_e32 v59, vcc_lo, s1, v55, vcc_lo
	global_load_dwordx4 v[54:57], v[54:55], off
	v_mad_u64_u32 v[62:63], null, 0xfffffc90, s8, v[58:59]
	global_load_dwordx4 v[58:61], v[58:59], off
	v_add_nc_u32_e32 v63, s6, v63
	v_add_co_u32 v32, vcc_lo, v62, s0
	v_add_co_ci_u32_e32 v33, vcc_lo, s1, v63, vcc_lo
	v_add_co_u32 v70, vcc_lo, v32, s0
	v_add_co_ci_u32_e32 v71, vcc_lo, s1, v33, vcc_lo
	global_load_dwordx4 v[62:65], v[62:63], off
	global_load_dwordx4 v[28:31], v53, s[12:13] offset:880
	global_load_dwordx4 v[66:69], v[32:33], off
	global_load_dwordx4 v[32:35], v53, s[12:13] offset:1408
	global_load_dwordx4 v[70:73], v[70:71], off
	s_mov_b32 s0, 0xe8584caa
	s_mov_b32 s1, 0x3febb67a
	;; [unrolled: 1-line block ×3, first 2 shown]
	v_cmp_gt_u16_e32 vcc_lo, 9, v52
	s_waitcnt vmcnt(10)
	v_mul_f64 v[74:75], v[38:39], v[18:19]
	v_mul_f64 v[76:77], v[36:37], v[18:19]
	s_waitcnt vmcnt(9)
	v_mul_f64 v[78:79], v[42:43], v[26:27]
	s_waitcnt vmcnt(7)
	v_mul_f64 v[86:87], v[50:51], v[6:7]
	v_mul_f64 v[88:89], v[48:49], v[6:7]
	v_mul_f64 v[80:81], v[40:41], v[26:27]
	v_mul_f64 v[82:83], v[46:47], v[22:23]
	v_mul_f64 v[84:85], v[44:45], v[22:23]
	s_waitcnt vmcnt(6)
	v_mul_f64 v[90:91], v[56:57], v[2:3]
	v_mul_f64 v[92:93], v[54:55], v[2:3]
	s_waitcnt vmcnt(5)
	v_mul_f64 v[94:95], v[60:61], v[10:11]
	v_mul_f64 v[96:97], v[58:59], v[10:11]
	v_fma_f64 v[36:37], v[36:37], v[16:17], v[74:75]
	v_fma_f64 v[38:39], v[38:39], v[16:17], -v[76:77]
	v_fma_f64 v[40:41], v[40:41], v[24:25], v[78:79]
	v_fma_f64 v[48:49], v[48:49], v[4:5], v[86:87]
	buffer_store_dword v4, off, s[40:43], 0 offset:32 ; 4-byte Folded Spill
	buffer_store_dword v5, off, s[40:43], 0 offset:36 ; 4-byte Folded Spill
	;; [unrolled: 1-line block ×4, first 2 shown]
	v_fma_f64 v[42:43], v[42:43], v[24:25], -v[80:81]
	v_fma_f64 v[44:45], v[44:45], v[20:21], v[82:83]
	v_fma_f64 v[46:47], v[46:47], v[20:21], -v[84:85]
	s_waitcnt vmcnt(4)
	v_mul_f64 v[98:99], v[64:65], v[14:15]
	v_mul_f64 v[100:101], v[62:63], v[14:15]
	s_waitcnt vmcnt(2)
	v_mul_f64 v[102:103], v[68:69], v[30:31]
	v_fma_f64 v[54:55], v[54:55], v[0:1], v[90:91]
	buffer_store_dword v0, off, s[40:43], 0 offset:16 ; 4-byte Folded Spill
	buffer_store_dword v1, off, s[40:43], 0 offset:20 ; 4-byte Folded Spill
	buffer_store_dword v2, off, s[40:43], 0 offset:24 ; 4-byte Folded Spill
	buffer_store_dword v3, off, s[40:43], 0 offset:28 ; 4-byte Folded Spill
	v_mul_f64 v[104:105], v[66:67], v[30:31]
	s_waitcnt vmcnt(0)
	v_mul_f64 v[106:107], v[72:73], v[34:35]
	v_mul_f64 v[108:109], v[70:71], v[34:35]
	v_fma_f64 v[58:59], v[58:59], v[8:9], v[94:95]
	v_fma_f64 v[60:61], v[60:61], v[8:9], -v[96:97]
	s_load_dwordx4 s[8:11], s[2:3], 0x0
	s_load_dwordx2 s[2:3], s[4:5], 0x38
	v_fma_f64 v[62:63], v[62:63], v[12:13], v[98:99]
	v_fma_f64 v[64:65], v[64:65], v[12:13], -v[100:101]
	v_fma_f64 v[66:67], v[66:67], v[28:29], v[102:103]
	v_add_co_u32 v98, null, v241, 11
	v_fma_f64 v[68:69], v[68:69], v[28:29], -v[104:105]
	v_fma_f64 v[70:71], v[70:71], v[32:33], v[106:107]
	v_fma_f64 v[72:73], v[72:73], v[32:33], -v[108:109]
	v_add_co_u32 v100, null, v241, 22
	v_mul_lo_u16 v101, v52, 3
	v_mov_b32_e32 v99, 5
	v_and_b32_e32 v86, 0xff, v100
	v_mul_lo_u16 v102, 0xab, v86
	v_lshrrev_b16 v126, 9, v102
	v_fma_f64 v[50:51], v[50:51], v[4:5], -v[88:89]
	v_fma_f64 v[56:57], v[56:57], v[0:1], -v[92:93]
	ds_write_b128 v236, v[36:39]
	ds_write_b128 v236, v[40:43] offset:528
	ds_write_b128 v236, v[44:47] offset:1056
	;; [unrolled: 1-line block ×8, first 2 shown]
	s_waitcnt lgkmcnt(0)
	s_waitcnt_vscnt null, 0x0
	s_barrier
	buffer_gl0_inv
	ds_read_b128 v[36:39], v236 offset:528
	ds_read_b128 v[40:43], v236 offset:1056
	;; [unrolled: 1-line block ×6, first 2 shown]
	v_and_b32_e32 v66, 0xff, v52
	v_and_b32_e32 v67, 0xff, v98
	ds_read_b128 v[62:65], v236
	v_mul_lo_u16 v76, 0xab, v66
	v_mul_lo_u16 v78, 0xab, v67
	ds_read_b128 v[66:69], v236 offset:176
	ds_read_b128 v[70:73], v236 offset:352
	s_waitcnt lgkmcnt(0)
	s_barrier
	v_lshrrev_b16 v120, 9, v76
	v_lshrrev_b16 v121, 9, v78
	buffer_gl0_inv
	v_mul_lo_u16 v87, v120, 3
	v_mul_lo_u16 v88, v121, 3
	v_add_f64 v[74:75], v[36:37], v[40:41]
	v_add_f64 v[76:77], v[38:39], v[42:43]
	v_add_f64 v[78:79], v[48:49], v[44:45]
	v_add_f64 v[80:81], v[50:51], v[46:47]
	v_add_f64 v[82:83], v[54:55], v[58:59]
	v_add_f64 v[84:85], v[56:57], v[60:61]
	v_sub_nc_u16 v122, v52, v87
	v_sub_nc_u16 v123, v98, v88
	v_add_f64 v[86:87], v[62:63], v[36:37]
	v_add_f64 v[88:89], v[38:39], -v[42:43]
	v_add_f64 v[38:39], v[64:65], v[38:39]
	v_add_f64 v[90:91], v[66:67], v[48:49]
	;; [unrolled: 1-line block ×5, first 2 shown]
	v_mad_u16 v52, v120, 9, v122
	v_and_b32_e32 v52, 0xff, v52
	v_fma_f64 v[62:63], v[74:75], -0.5, v[62:63]
	v_add_f64 v[74:75], v[36:37], -v[40:41]
	v_fma_f64 v[64:65], v[76:77], -0.5, v[64:65]
	v_add_f64 v[76:77], v[50:51], -v[46:47]
	;; [unrolled: 2-line block ×5, first 2 shown]
	v_fma_f64 v[72:73], v[84:85], -0.5, v[72:73]
	v_add_f64 v[36:37], v[86:87], v[40:41]
	v_add_f64 v[38:39], v[38:39], v[42:43]
	;; [unrolled: 1-line block ×6, first 2 shown]
	v_and_b32_e32 v84, 0xffff, v101
	v_mul_u32_u24_e32 v85, 3, v98
	v_lshlrev_b16 v98, 1, v122
	v_lshlrev_b16 v101, 1, v123
	v_fma_f64 v[54:55], v[88:89], s[6:7], v[62:63]
	v_fma_f64 v[48:49], v[88:89], s[0:1], v[62:63]
	;; [unrolled: 1-line block ×12, first 2 shown]
	v_mul_lo_u16 v75, v126, 3
	v_mul_u32_u24_e32 v74, 3, v100
	v_and_b32_e32 v76, 0xfe, v98
	v_and_b32_e32 v77, 0xfe, v101
	v_lshl_add_u32 v79, v84, 4, v235
	v_sub_nc_u16 v136, v100, v75
	v_lshl_add_u32 v78, v85, 4, v235
	v_lshl_add_u32 v243, v74, 4, v235
	v_lshlrev_b32_e32 v74, 4, v76
	v_lshlrev_b32_e32 v75, 4, v77
	ds_write_b128 v79, v[36:39]
	ds_write_b128 v79, v[48:51] offset:16
	buffer_store_dword v79, off, s[40:43], 0 offset:12 ; 4-byte Folded Spill
	ds_write_b128 v79, v[54:57] offset:32
	ds_write_b128 v78, v[40:43]
	ds_write_b128 v78, v[58:61] offset:16
	v_lshlrev_b32_sdwa v54, v99, v136 dst_sel:DWORD dst_unused:UNUSED_PAD src0_sel:DWORD src1_sel:BYTE_0
	buffer_store_dword v78, off, s[40:43], 0 offset:4 ; 4-byte Folded Spill
	ds_write_b128 v78, v[62:65] offset:32
	ds_write_b128 v243, v[44:47]
	ds_write_b128 v243, v[66:69] offset:16
	ds_write_b128 v243, v[70:73] offset:32
	s_waitcnt lgkmcnt(0)
	s_waitcnt_vscnt null, 0x0
	s_barrier
	buffer_gl0_inv
	s_clause 0x5
	global_load_dwordx4 v[48:51], v74, s[14:15]
	global_load_dwordx4 v[44:47], v74, s[14:15] offset:16
	global_load_dwordx4 v[40:43], v75, s[14:15]
	global_load_dwordx4 v[36:39], v75, s[14:15] offset:16
	;; [unrolled: 2-line block ×3, first 2 shown]
	ds_read_b128 v[64:67], v236 offset:528
	ds_read_b128 v[68:71], v236 offset:1056
	;; [unrolled: 1-line block ×7, first 2 shown]
	s_waitcnt vmcnt(3) lgkmcnt(4)
	v_mul_f64 v[98:99], v[74:75], v[42:43]
	v_mul_f64 v[54:55], v[66:67], v[50:51]
	;; [unrolled: 1-line block ×5, first 2 shown]
	s_waitcnt vmcnt(2) lgkmcnt(3)
	v_mul_f64 v[100:101], v[78:79], v[38:39]
	v_mul_f64 v[102:103], v[72:73], v[42:43]
	;; [unrolled: 1-line block ×3, first 2 shown]
	s_waitcnt vmcnt(1) lgkmcnt(2)
	v_mul_f64 v[106:107], v[82:83], v[62:63]
	s_waitcnt vmcnt(0) lgkmcnt(1)
	v_mul_f64 v[108:109], v[86:87], v[58:59]
	v_mul_f64 v[110:111], v[80:81], v[62:63]
	;; [unrolled: 1-line block ×3, first 2 shown]
	v_fma_f64 v[72:73], v[72:73], v[40:41], -v[98:99]
	v_fma_f64 v[54:55], v[64:65], v[48:49], -v[54:55]
	;; [unrolled: 1-line block ×3, first 2 shown]
	v_fma_f64 v[94:95], v[66:67], v[48:49], v[94:95]
	v_fma_f64 v[96:97], v[70:71], v[44:45], v[96:97]
	v_fma_f64 v[76:77], v[76:77], v[36:37], -v[100:101]
	v_fma_f64 v[74:75], v[74:75], v[40:41], v[102:103]
	v_fma_f64 v[78:79], v[78:79], v[36:37], v[104:105]
	v_fma_f64 v[80:81], v[80:81], v[60:61], -v[106:107]
	v_fma_f64 v[84:85], v[84:85], v[56:57], -v[108:109]
	v_fma_f64 v[82:83], v[82:83], v[60:61], v[110:111]
	v_fma_f64 v[86:87], v[86:87], v[56:57], v[112:113]
	ds_read_b128 v[64:67], v236
	ds_read_b128 v[68:71], v236 offset:176
	s_waitcnt lgkmcnt(0)
	s_barrier
	buffer_gl0_inv
	v_add_f64 v[98:99], v[54:55], v[92:93]
	v_add_f64 v[100:101], v[94:95], v[96:97]
	;; [unrolled: 1-line block ×3, first 2 shown]
	v_add_f64 v[112:113], v[94:95], -v[96:97]
	v_add_f64 v[104:105], v[74:75], v[78:79]
	v_add_f64 v[118:119], v[88:89], v[80:81]
	;; [unrolled: 1-line block ×9, first 2 shown]
	v_add_f64 v[54:55], v[54:55], -v[92:93]
	v_add_f64 v[74:75], v[74:75], -v[78:79]
	;; [unrolled: 1-line block ×5, first 2 shown]
	v_fma_f64 v[64:65], v[98:99], -0.5, v[64:65]
	v_mul_u32_u24_sdwa v98, v126, v127 dst_sel:DWORD dst_unused:UNUSED_PAD src0_sel:WORD_0 src1_sel:DWORD
	v_fma_f64 v[66:67], v[100:101], -0.5, v[66:67]
	v_fma_f64 v[68:69], v[102:103], -0.5, v[68:69]
	v_mad_u16 v99, v121, 9, v123
	v_fma_f64 v[70:71], v[104:105], -0.5, v[70:71]
	v_add_f64 v[104:105], v[118:119], v[84:85]
	v_fma_f64 v[88:89], v[106:107], -0.5, v[88:89]
	v_fma_f64 v[90:91], v[108:109], -0.5, v[90:91]
	v_add_f64 v[108:109], v[110:111], v[92:93]
	v_add_f64 v[110:111], v[94:95], v[96:97]
	;; [unrolled: 1-line block ×5, first 2 shown]
	v_fma_f64 v[132:133], v[112:113], s[0:1], v[64:65]
	v_fma_f64 v[128:129], v[112:113], s[6:7], v[64:65]
	;; [unrolled: 1-line block ×12, first 2 shown]
	v_add_nc_u32_sdwa v54, v98, v136 dst_sel:DWORD dst_unused:UNUSED_PAD src0_sel:DWORD src1_sel:BYTE_0
	v_and_b32_e32 v55, 0xff, v99
	v_add_co_u32 v145, s0, s12, v53
	v_add_co_ci_u32_e64 v146, null, s13, 0, s0
	v_lshl_add_u32 v53, v52, 4, v235
	v_lshl_add_u32 v242, v54, 4, v235
	;; [unrolled: 1-line block ×3, first 2 shown]
	ds_write_b128 v53, v[108:111]
	ds_write_b128 v53, v[132:135] offset:48
	buffer_store_dword v53, off, s[40:43], 0 offset:8 ; 4-byte Folded Spill
	ds_write_b128 v53, v[128:131] offset:96
	ds_write_b128 v52, v[120:123]
	ds_write_b128 v52, v[112:115] offset:48
	buffer_store_dword v52, off, s[40:43], 0 ; 4-byte Folded Spill
	ds_write_b128 v52, v[100:103] offset:96
	ds_write_b128 v242, v[104:107]
	ds_write_b128 v242, v[116:119] offset:48
	ds_write_b128 v242, v[124:127] offset:96
	s_waitcnt lgkmcnt(0)
	s_waitcnt_vscnt null, 0x0
	s_barrier
	buffer_gl0_inv
                                        ; implicit-def: $vgpr136_vgpr137
	s_and_saveexec_b32 s0, vcc_lo
	s_cbranch_execz .LBB0_3
; %bb.2:
	ds_read_b128 v[108:111], v236
	ds_read_b128 v[132:135], v236 offset:144
	ds_read_b128 v[128:131], v236 offset:288
	;; [unrolled: 1-line block ×10, first 2 shown]
.LBB0_3:
	s_or_b32 exec_lo, exec_lo, s0
	v_add_nc_u32_e32 v52, -9, v241
	s_mov_b32 s4, 0x8eee2c13
	s_mov_b32 s5, 0xbfed1bb4
	s_mov_b32 s6, 0x8764f0ba
	s_mov_b32 s18, 0xbb3a28a1
	v_cndmask_b32_e32 v52, v52, v241, vcc_lo
	s_mov_b32 s7, 0x3feaeb8c
	s_mov_b32 s19, 0xbfe82f19
	;; [unrolled: 1-line block ×4, first 2 shown]
	v_mul_i32_i24_e32 v53, 0xa0, v52
	v_mul_hi_i32_i24_e32 v52, 0xa0, v52
	s_mov_b32 s22, 0xfd768dbf
	s_mov_b32 s17, 0xbfefac9e
	;; [unrolled: 1-line block ×3, first 2 shown]
	v_add_co_u32 v80, s0, s14, v53
	v_add_co_ci_u32_e64 v81, s0, s15, v52, s0
	s_mov_b32 s0, 0xf8bb580b
	s_mov_b32 s1, 0xbfe14ced
	;; [unrolled: 1-line block ×3, first 2 shown]
	s_clause 0x9
	global_load_dwordx4 v[52:55], v[80:81], off offset:96
	global_load_dwordx4 v[96:99], v[80:81], off offset:240
	;; [unrolled: 1-line block ×10, first 2 shown]
	s_mov_b32 s15, 0x3fda9628
	s_mov_b32 s23, 0x3fd207e7
	;; [unrolled: 1-line block ×12, first 2 shown]
	s_waitcnt vmcnt(9) lgkmcnt(9)
	v_mul_f64 v[147:148], v[132:133], v[54:55]
	s_waitcnt vmcnt(8) lgkmcnt(0)
	v_mul_f64 v[149:150], v[140:141], v[98:99]
	v_mul_f64 v[151:152], v[134:135], v[54:55]
	;; [unrolled: 1-line block ×3, first 2 shown]
	s_waitcnt vmcnt(7)
	v_mul_f64 v[155:156], v[130:131], v[90:91]
	v_mul_f64 v[157:158], v[128:129], v[90:91]
	s_waitcnt vmcnt(6)
	v_mul_f64 v[159:160], v[136:137], v[94:95]
	v_mul_f64 v[161:162], v[138:139], v[94:95]
	s_waitcnt vmcnt(2)
	v_mul_f64 v[163:164], v[118:119], v[74:75]
	s_waitcnt vmcnt(0)
	v_mul_f64 v[165:166], v[104:105], v[82:83]
	v_fma_f64 v[169:170], v[134:135], v[52:53], v[147:148]
	v_fma_f64 v[134:135], v[142:143], v[96:97], v[149:150]
	v_fma_f64 v[171:172], v[132:133], v[52:53], -v[151:152]
	v_fma_f64 v[132:133], v[140:141], v[96:97], -v[153:154]
	v_mul_f64 v[147:148], v[122:123], v[66:67]
	v_mul_f64 v[149:150], v[120:121], v[66:67]
	;; [unrolled: 1-line block ×4, first 2 shown]
	v_fma_f64 v[140:141], v[128:129], v[88:89], -v[155:156]
	v_fma_f64 v[142:143], v[130:131], v[88:89], v[157:158]
	v_fma_f64 v[2:3], v[138:139], v[92:93], v[159:160]
	v_fma_f64 v[128:129], v[136:137], v[92:93], -v[161:162]
	v_mul_f64 v[155:156], v[112:113], v[78:79]
	v_mul_f64 v[157:158], v[116:117], v[74:75]
	;; [unrolled: 1-line block ×3, first 2 shown]
	v_fma_f64 v[163:164], v[116:117], v[72:73], -v[163:164]
	v_fma_f64 v[181:182], v[106:107], v[80:81], v[165:166]
	v_add_f64 v[189:190], v[169:170], -v[134:135]
	v_add_f64 v[225:226], v[169:170], v[134:135]
	v_add_f64 v[191:192], v[171:172], -v[132:133]
	v_fma_f64 v[136:137], v[120:121], v[64:65], -v[147:148]
	v_fma_f64 v[138:139], v[122:123], v[64:65], v[149:150]
	v_fma_f64 v[122:123], v[126:127], v[68:69], v[151:152]
	v_fma_f64 v[120:121], v[124:125], v[68:69], -v[153:154]
	v_add_f64 v[223:224], v[171:172], v[132:133]
	v_mul_f64 v[147:148], v[102:103], v[86:87]
	v_add_f64 v[126:127], v[142:143], -v[2:3]
	v_add_f64 v[124:125], v[140:141], -v[128:129]
	v_mul_f64 v[149:150], v[100:101], v[86:87]
	v_mul_f64 v[153:154], v[106:107], v[82:83]
	v_fma_f64 v[173:174], v[114:115], v[76:77], v[155:156]
	v_fma_f64 v[161:162], v[118:119], v[72:73], v[157:158]
	v_fma_f64 v[175:176], v[112:113], v[76:77], -v[159:160]
	v_add_f64 v[114:115], v[140:141], v[128:129]
	v_add_f64 v[159:160], v[142:143], v[2:3]
	v_mul_f64 v[227:228], v[189:190], s[0:1]
	v_mul_f64 v[231:232], v[189:190], s[4:5]
	v_mul_f64 v[229:230], v[191:192], s[0:1]
	v_mul_f64 v[233:234], v[191:192], s[4:5]
	v_add_f64 v[151:152], v[138:139], -v[122:123]
	v_add_f64 v[112:113], v[136:137], -v[120:121]
	v_add_f64 v[116:117], v[136:137], v[120:121]
	v_fma_f64 v[183:184], v[100:101], v[84:85], -v[147:148]
	v_mul_f64 v[201:202], v[126:127], s[4:5]
	v_mul_f64 v[203:204], v[124:125], s[4:5]
	;; [unrolled: 1-line block ×4, first 2 shown]
	v_fma_f64 v[185:186], v[102:103], v[84:85], v[149:150]
	v_fma_f64 v[179:180], v[104:105], v[80:81], -v[153:154]
	v_add_f64 v[167:168], v[138:139], v[122:123]
	v_add_f64 v[157:158], v[173:174], -v[161:162]
	v_add_f64 v[118:119], v[175:176], -v[163:164]
	v_add_f64 v[153:154], v[175:176], v[163:164]
	v_fma_f64 v[155:156], v[223:224], s[6:7], v[227:228]
	v_fma_f64 v[195:196], v[223:224], s[14:15], v[231:232]
	v_fma_f64 v[177:178], v[225:226], s[6:7], -v[229:230]
	v_fma_f64 v[205:206], v[225:226], s[14:15], -v[233:234]
	v_mul_f64 v[207:208], v[151:152], s[16:17]
	v_mul_f64 v[211:212], v[112:113], s[16:17]
	;; [unrolled: 1-line block ×4, first 2 shown]
	v_fma_f64 v[100:101], v[114:115], s[14:15], v[201:202]
	v_fma_f64 v[102:103], v[159:160], s[14:15], -v[203:204]
	v_fma_f64 v[104:105], v[114:115], s[20:21], v[187:188]
	v_fma_f64 v[106:107], v[159:160], s[20:21], -v[193:194]
	v_add_f64 v[147:148], v[185:186], -v[181:182]
	v_add_f64 v[149:150], v[183:184], -v[179:180]
	v_mul_f64 v[215:216], v[157:158], s[18:19]
	v_mul_f64 v[217:218], v[118:119], s[18:19]
	;; [unrolled: 1-line block ×3, first 2 shown]
	v_add_f64 v[155:156], v[108:109], v[155:156]
	v_add_f64 v[195:196], v[108:109], v[195:196]
	;; [unrolled: 1-line block ×5, first 2 shown]
	v_mul_f64 v[205:206], v[157:158], s[34:35]
	v_fma_f64 v[244:245], v[116:117], s[26:27], v[207:208]
	v_fma_f64 v[246:247], v[167:168], s[26:27], -v[211:212]
	v_fma_f64 v[248:249], v[116:117], s[24:25], v[197:198]
	v_fma_f64 v[250:251], v[167:168], s[24:25], -v[199:200]
	v_mul_f64 v[219:220], v[147:148], s[30:31]
	v_mul_f64 v[221:222], v[149:150], s[30:31]
	;; [unrolled: 1-line block ×3, first 2 shown]
	v_fma_f64 v[252:253], v[153:154], s[20:21], v[215:216]
	v_add_f64 v[100:101], v[100:101], v[155:156]
	v_add_f64 v[104:105], v[104:105], v[195:196]
	;; [unrolled: 1-line block ×6, first 2 shown]
	v_mul_f64 v[213:214], v[149:150], s[28:29]
	v_fma_f64 v[254:255], v[177:178], s[20:21], -v[217:218]
	v_fma_f64 v[237:238], v[153:154], s[26:27], v[205:206]
	v_fma_f64 v[239:240], v[177:178], s[26:27], -v[209:210]
	v_add_f64 v[100:101], v[244:245], v[100:101]
	v_add_f64 v[104:105], v[248:249], v[104:105]
	;; [unrolled: 1-line block ×4, first 2 shown]
	v_fma_f64 v[244:245], v[155:156], s[24:25], v[219:220]
	v_fma_f64 v[246:247], v[165:166], s[24:25], -v[221:222]
	v_fma_f64 v[248:249], v[155:156], s[6:7], v[0:1]
	v_fma_f64 v[250:251], v[165:166], s[6:7], -v[213:214]
	v_add_f64 v[100:101], v[252:253], v[100:101]
	v_add_f64 v[237:238], v[237:238], v[104:105]
	;; [unrolled: 1-line block ×8, first 2 shown]
	s_and_saveexec_b32 s33, vcc_lo
	s_cbranch_execz .LBB0_5
; %bb.4:
	v_mul_f64 v[237:238], v[225:226], s[14:15]
	v_mul_f64 v[239:240], v[225:226], s[20:21]
	s_mov_b32 s37, 0x3fe82f19
	s_mov_b32 s36, s18
	v_mul_f64 v[250:251], v[189:190], s[18:19]
	v_mov_b32_e32 v6, v134
	v_mov_b32_e32 v196, v243
	;; [unrolled: 1-line block ×6, first 2 shown]
	v_add_f64 v[134:135], v[108:109], v[171:172]
	s_mov_b32 s39, 0x3fed1bb4
	s_mov_b32 s38, s4
	v_mul_f64 v[130:131], v[147:148], s[16:17]
	v_add_f64 v[233:234], v[233:234], v[237:238]
	v_mul_f64 v[237:238], v[225:226], s[6:7]
	v_fma_f64 v[246:247], v[191:192], s[36:37], v[239:240]
	v_fma_f64 v[239:240], v[191:192], s[18:19], v[239:240]
	;; [unrolled: 1-line block ×3, first 2 shown]
	v_fma_f64 v[250:251], v[223:224], s[20:21], -v[250:251]
	v_add_f64 v[134:135], v[134:135], v[140:141]
	v_add_f64 v[233:234], v[110:111], v[233:234]
	;; [unrolled: 1-line block ×3, first 2 shown]
	v_mul_f64 v[237:238], v[223:224], s[6:7]
	v_add_f64 v[239:240], v[110:111], v[239:240]
	v_add_f64 v[4:5], v[108:109], v[254:255]
	;; [unrolled: 1-line block ×3, first 2 shown]
	buffer_store_dword v4, off, s[40:43], 0 offset:56 ; 4-byte Folded Spill
	buffer_store_dword v5, off, s[40:43], 0 offset:60 ; 4-byte Folded Spill
	v_add_f64 v[227:228], v[237:238], -v[227:228]
	v_mul_f64 v[237:238], v[223:224], s[14:15]
	v_add_f64 v[229:230], v[110:111], v[229:230]
	v_add_f64 v[134:135], v[134:135], v[136:137]
	v_mul_f64 v[136:137], v[159:160], s[24:25]
	v_add_f64 v[227:228], v[108:109], v[227:228]
	v_add_f64 v[231:232], v[237:238], -v[231:232]
	v_mul_f64 v[237:238], v[225:226], s[24:25]
	v_mul_f64 v[225:226], v[225:226], s[26:27]
	v_add_f64 v[134:135], v[134:135], v[175:176]
	v_add_f64 v[231:232], v[108:109], v[231:232]
	v_fma_f64 v[244:245], v[191:192], s[22:23], v[237:238]
	v_fma_f64 v[237:238], v[191:192], s[30:31], v[237:238]
	;; [unrolled: 1-line block ×4, first 2 shown]
	v_mul_f64 v[225:226], v[189:190], s[30:31]
	v_mul_f64 v[189:190], v[189:190], s[16:17]
	v_add_f64 v[134:135], v[134:135], v[183:184]
	v_mul_f64 v[183:184], v[167:168], s[14:15]
	v_add_f64 v[237:238], v[110:111], v[237:238]
	v_add_f64 v[248:249], v[110:111], v[248:249]
	;; [unrolled: 1-line block ×3, first 2 shown]
	v_fma_f64 v[252:253], v[223:224], s[24:25], v[225:226]
	v_fma_f64 v[225:226], v[223:224], s[24:25], -v[225:226]
	v_fma_f64 v[241:242], v[223:224], s[26:27], -v[189:190]
	v_fma_f64 v[189:190], v[223:224], s[26:27], v[189:190]
	v_add_f64 v[223:224], v[110:111], v[169:170]
	v_add_f64 v[169:170], v[110:111], v[244:245]
	;; [unrolled: 1-line block ×4, first 2 shown]
	v_mul_f64 v[179:180], v[151:152], s[38:39]
	v_add_f64 v[171:172], v[108:109], v[252:253]
	v_mul_f64 v[252:253], v[159:160], s[6:7]
	v_add_f64 v[225:226], v[108:109], v[225:226]
	v_add_f64 v[241:242], v[108:109], v[241:242]
	v_add_f64 v[4:5], v[108:109], v[189:190]
	v_add_f64 v[142:143], v[223:224], v[142:143]
	buffer_store_dword v4, off, s[40:43], 0 offset:64 ; 4-byte Folded Spill
	buffer_store_dword v5, off, s[40:43], 0 offset:68 ; 4-byte Folded Spill
	v_fma_f64 v[108:109], v[124:125], s[0:1], v[252:253]
	buffer_store_dword v132, off, s[40:43], 0 offset:48 ; 4-byte Folded Spill
	buffer_store_dword v133, off, s[40:43], 0 offset:52 ; 4-byte Folded Spill
	v_mov_b32_e32 v4, v128
	v_mov_b32_e32 v5, v129
	v_mul_f64 v[128:129], v[165:166], s[26:27]
	v_add_f64 v[138:139], v[142:143], v[138:139]
	v_add_f64 v[134:135], v[134:135], v[163:164]
	v_fma_f64 v[142:143], v[124:125], s[22:23], v[136:137]
	v_add_f64 v[108:109], v[108:109], v[169:170]
	v_mul_f64 v[169:170], v[126:127], s[28:29]
	v_add_f64 v[138:139], v[138:139], v[173:174]
	v_mul_f64 v[173:174], v[126:127], s[22:23]
	v_mul_f64 v[126:127], v[126:127], s[34:35]
	v_add_f64 v[120:121], v[134:135], v[120:121]
	v_mul_f64 v[134:135], v[159:160], s[26:27]
	v_add_f64 v[142:143], v[142:143], v[248:249]
	v_fma_f64 v[110:111], v[114:115], s[6:7], v[169:170]
	v_fma_f64 v[169:170], v[114:115], s[6:7], -v[169:170]
	v_add_f64 v[138:139], v[138:139], v[185:186]
	v_fma_f64 v[175:176], v[114:115], s[24:25], -v[173:174]
	v_fma_f64 v[185:186], v[112:113], s[38:39], v[183:184]
	v_add_f64 v[120:121], v[120:121], v[4:5]
	v_add_f64 v[110:111], v[110:111], v[171:172]
	v_mul_f64 v[171:172], v[167:168], s[20:21]
	v_add_f64 v[169:170], v[169:170], v[225:226]
	v_add_f64 v[138:139], v[138:139], v[181:182]
	;; [unrolled: 1-line block ×4, first 2 shown]
	v_fma_f64 v[181:182], v[116:117], s[14:15], -v[179:180]
	v_mov_b32_e32 v241, v235
	v_mov_b32_e32 v235, v243
	;; [unrolled: 1-line block ×4, first 2 shown]
	v_fma_f64 v[254:255], v[112:113], s[36:37], v[171:172]
	v_fma_f64 v[171:172], v[112:113], s[18:19], v[171:172]
	v_add_f64 v[138:139], v[138:139], v[161:162]
	v_mul_f64 v[161:162], v[177:178], s[6:7]
	v_add_f64 v[175:176], v[181:182], v[175:176]
	v_add_f64 v[108:109], v[254:255], v[108:109]
	v_mul_f64 v[254:255], v[151:152], s[18:19]
	v_mul_f64 v[151:152], v[151:152], s[0:1]
	v_add_f64 v[122:123], v[138:139], v[122:123]
	v_fma_f64 v[163:164], v[118:119], s[0:1], v[161:162]
	v_fma_f64 v[138:139], v[124:125], s[34:35], v[134:135]
	;; [unrolled: 1-line block ×4, first 2 shown]
	v_add_f64 v[122:123], v[122:123], v[2:3]
	v_add_f64 v[142:143], v[163:164], v[142:143]
	v_mul_f64 v[163:164], v[167:168], s[6:7]
	v_add_f64 v[138:139], v[138:139], v[239:240]
	v_add_f64 v[134:135], v[134:135], v[244:245]
	;; [unrolled: 1-line block ×3, first 2 shown]
	v_mul_f64 v[132:133], v[177:178], s[14:15]
	v_add_f64 v[122:123], v[122:123], v[6:7]
	v_fma_f64 v[246:247], v[118:119], s[4:5], v[132:133]
	v_fma_f64 v[132:133], v[118:119], s[38:39], v[132:133]
	v_add_f64 v[108:109], v[246:247], v[108:109]
	v_mul_f64 v[246:247], v[157:158], s[38:39]
	v_fma_f64 v[189:190], v[153:154], s[14:15], v[246:247]
	v_add_f64 v[189:190], v[189:190], v[110:111]
	v_fma_f64 v[110:111], v[149:150], s[34:35], v[128:129]
	v_fma_f64 v[128:129], v[149:150], s[16:17], v[128:129]
	v_add_f64 v[110:111], v[110:111], v[108:109]
	v_fma_f64 v[108:109], v[155:156], s[26:27], v[130:131]
	v_fma_f64 v[130:131], v[155:156], s[26:27], -v[130:131]
	v_add_f64 v[108:109], v[108:109], v[189:190]
	v_fma_f64 v[189:190], v[124:125], s[28:29], v[252:253]
	v_fma_f64 v[124:125], v[124:125], s[30:31], v[136:137]
	v_add_f64 v[189:190], v[189:190], v[237:238]
	v_add_f64 v[124:125], v[124:125], v[191:192]
	;; [unrolled: 1-line block ×3, first 2 shown]
	v_fma_f64 v[189:190], v[116:117], s[20:21], -v[254:255]
	v_add_f64 v[132:133], v[132:133], v[171:172]
	v_add_f64 v[169:170], v[189:190], v[169:170]
	v_fma_f64 v[171:172], v[153:154], s[14:15], -v[246:247]
	v_mul_f64 v[189:190], v[116:117], s[26:27]
	v_add_f64 v[169:170], v[171:172], v[169:170]
	v_add_f64 v[171:172], v[128:129], v[132:133]
	v_mul_f64 v[128:129], v[159:160], s[14:15]
	v_mul_f64 v[132:133], v[167:168], s[26:27]
	v_add_f64 v[189:190], v[189:190], -v[207:208]
	v_mul_f64 v[207:208], v[165:166], s[24:25]
	v_add_f64 v[169:170], v[130:131], v[169:170]
	v_mul_f64 v[130:131], v[114:115], s[14:15]
	v_add_f64 v[128:129], v[203:204], v[128:129]
	;; [unrolled: 2-line block ×4, first 2 shown]
	v_add_f64 v[130:131], v[130:131], -v[201:202]
	v_mul_f64 v[201:202], v[177:178], s[20:21]
	v_add_f64 v[203:204], v[203:204], -v[215:216]
	v_mul_f64 v[215:216], v[159:160], s[20:21]
	v_fma_f64 v[159:160], v[114:115], s[26:27], -v[126:127]
	v_fma_f64 v[126:127], v[114:115], s[26:27], v[126:127]
	v_add_f64 v[128:129], v[128:129], v[229:230]
	v_add_f64 v[211:212], v[211:212], -v[219:220]
	v_add_f64 v[130:131], v[130:131], v[227:228]
	v_add_f64 v[201:202], v[217:218], v[201:202]
	;; [unrolled: 1-line block ×3, first 2 shown]
	v_mul_f64 v[215:216], v[114:115], s[20:21]
	v_fma_f64 v[114:115], v[114:115], s[24:25], v[173:174]
	v_add_f64 v[159:160], v[159:160], v[250:251]
	v_add_f64 v[128:129], v[132:133], v[128:129]
	;; [unrolled: 1-line block ×4, first 2 shown]
	v_add_f64 v[187:188], v[215:216], -v[187:188]
	v_mul_f64 v[215:216], v[167:168], s[24:25]
	v_fma_f64 v[167:168], v[112:113], s[0:1], v[163:164]
	v_fma_f64 v[163:164], v[112:113], s[28:29], v[163:164]
	;; [unrolled: 1-line block ×3, first 2 shown]
	v_add_f64 v[128:129], v[201:202], v[128:129]
	v_add_f64 v[130:131], v[203:204], v[130:131]
	v_add_f64 v[187:188], v[187:188], v[231:232]
	v_add_f64 v[199:200], v[199:200], v[215:216]
	v_mul_f64 v[215:216], v[116:117], s[24:25]
	v_add_f64 v[138:139], v[167:168], v[138:139]
	v_mul_f64 v[167:168], v[157:158], s[0:1]
	v_mul_f64 v[157:158], v[157:158], s[30:31]
	v_add_f64 v[134:135], v[163:164], v[134:135]
	v_add_f64 v[112:113], v[112:113], v[124:125]
	;; [unrolled: 1-line block ×3, first 2 shown]
	v_add_f64 v[197:198], v[215:216], -v[197:198]
	v_mul_f64 v[215:216], v[177:178], s[26:27]
	v_fma_f64 v[181:182], v[153:154], s[6:7], -v[167:168]
	v_mul_f64 v[177:178], v[177:178], s[24:25]
	v_fma_f64 v[124:125], v[153:154], s[6:7], v[167:168]
	v_add_f64 v[140:141], v[197:198], v[187:188]
	v_mul_f64 v[187:188], v[155:156], s[6:7]
	v_add_f64 v[175:176], v[181:182], v[175:176]
	v_fma_f64 v[181:182], v[116:117], s[6:7], -v[151:152]
	v_fma_f64 v[151:152], v[116:117], s[6:7], v[151:152]
	v_fma_f64 v[136:137], v[118:119], s[22:23], v[177:178]
	v_add_f64 v[209:210], v[209:210], v[215:216]
	v_mul_f64 v[215:216], v[153:154], s[26:27]
	v_fma_f64 v[116:117], v[116:117], s[14:15], v[179:180]
	v_add_f64 v[187:188], v[187:188], -v[0:1]
	s_clause 0x1
	buffer_load_dword v0, off, s[40:43], 0 offset:56
	buffer_load_dword v1, off, s[40:43], 0 offset:60
	v_add_f64 v[159:160], v[181:182], v[159:160]
	v_fma_f64 v[181:182], v[118:119], s[30:31], v[177:178]
	v_add_f64 v[134:135], v[136:137], v[134:135]
	v_fma_f64 v[136:137], v[153:154], s[24:25], v[157:158]
	v_fma_f64 v[118:119], v[118:119], s[28:29], v[161:162]
	v_add_f64 v[205:206], v[215:216], -v[205:206]
	v_mul_f64 v[215:216], v[165:166], s[6:7]
	v_add_f64 v[132:133], v[209:210], v[132:133]
	v_add_f64 v[138:139], v[181:182], v[138:139]
	v_fma_f64 v[181:182], v[153:154], s[24:25], -v[157:158]
	v_add_f64 v[140:141], v[205:206], v[140:141]
	v_add_f64 v[213:214], v[213:214], v[215:216]
	;; [unrolled: 1-line block ×3, first 2 shown]
	s_waitcnt vmcnt(0)
	v_add_f64 v[126:127], v[126:127], v[0:1]
	s_clause 0x1
	buffer_load_dword v0, off, s[40:43], 0 offset:64
	buffer_load_dword v1, off, s[40:43], 0 offset:68
	v_add_f64 v[126:127], v[151:152], v[126:127]
	v_mul_f64 v[151:152], v[165:166], s[20:21]
	v_add_f64 v[136:137], v[136:137], v[126:127]
	v_mul_f64 v[126:127], v[165:166], s[14:15]
	v_fma_f64 v[153:154], v[149:150], s[38:39], v[126:127]
	v_fma_f64 v[157:158], v[149:150], s[4:5], v[126:127]
	;; [unrolled: 1-line block ×4, first 2 shown]
	v_add_f64 v[151:152], v[118:119], v[112:113]
	v_mul_f64 v[112:113], v[147:148], s[38:39]
	v_add_f64 v[118:119], v[213:214], v[132:133]
	v_add_f64 v[134:135], v[157:158], v[134:135]
	;; [unrolled: 1-line block ×3, first 2 shown]
	v_fma_f64 v[161:162], v[155:156], s[14:15], v[112:113]
	v_add_f64 v[132:133], v[161:162], v[136:137]
	s_waitcnt vmcnt(0)
	v_add_f64 v[114:115], v[114:115], v[0:1]
	s_clause 0x1
	buffer_load_dword v0, off, s[40:43], 0 offset:48
	buffer_load_dword v1, off, s[40:43], 0 offset:52
	v_add_f64 v[114:115], v[116:117], v[114:115]
	v_mul_f64 v[116:117], v[147:148], s[18:19]
	v_fma_f64 v[147:148], v[155:156], s[14:15], -v[112:113]
	v_add_f64 v[112:113], v[211:212], v[130:131]
	v_add_f64 v[130:131], v[153:154], v[138:139]
	;; [unrolled: 1-line block ×4, first 2 shown]
	v_fma_f64 v[163:164], v[155:156], s[20:21], -v[116:117]
	v_fma_f64 v[155:156], v[155:156], s[20:21], v[116:117]
	v_add_f64 v[114:115], v[207:208], v[128:129]
	v_add_f64 v[116:117], v[187:188], v[140:141]
	;; [unrolled: 1-line block ×3, first 2 shown]
	v_lshl_add_u32 v140, v241, 4, v235
	v_add_f64 v[124:125], v[163:164], v[175:176]
	v_add_f64 v[136:137], v[155:156], v[165:166]
	s_waitcnt vmcnt(0)
	v_add_f64 v[120:121], v[120:121], v[0:1]
	ds_write_b128 v236, v[120:123]
	ds_write_b128 v140, v[112:115] offset:144
	ds_write_b128 v140, v[116:119] offset:288
	;; [unrolled: 1-line block ×10, first 2 shown]
.LBB0_5:
	s_or_b32 exec_lo, exec_lo, s33
	v_lshlrev_b32_e32 v140, 4, v241
	s_add_u32 s0, s12, 0x630
	s_addc_u32 s1, s13, 0
	s_waitcnt lgkmcnt(0)
	s_waitcnt_vscnt null, 0x0
	s_barrier
	buffer_gl0_inv
	s_clause 0x8
	global_load_dwordx4 v[108:111], v[145:146], off offset:1584
	global_load_dwordx4 v[112:115], v140, s[0:1] offset:528
	global_load_dwordx4 v[116:119], v140, s[0:1] offset:1056
	;; [unrolled: 1-line block ×8, first 2 shown]
	ds_read_b128 v[145:148], v236
	ds_read_b128 v[149:152], v236 offset:528
	ds_read_b128 v[153:156], v236 offset:1056
	;; [unrolled: 1-line block ×8, first 2 shown]
	s_mov_b32 s0, 0xe8584caa
	s_mov_b32 s1, 0xbfebb67a
	;; [unrolled: 1-line block ×4, first 2 shown]
	s_waitcnt vmcnt(8) lgkmcnt(8)
	v_mul_f64 v[181:182], v[147:148], v[110:111]
	v_mul_f64 v[110:111], v[145:146], v[110:111]
	s_waitcnt vmcnt(7) lgkmcnt(7)
	v_mul_f64 v[183:184], v[151:152], v[114:115]
	v_mul_f64 v[114:115], v[149:150], v[114:115]
	;; [unrolled: 3-line block ×9, first 2 shown]
	v_fma_f64 v[145:146], v[145:146], v[108:109], -v[181:182]
	v_fma_f64 v[147:148], v[147:148], v[108:109], v[110:111]
	v_fma_f64 v[108:109], v[149:150], v[112:113], -v[183:184]
	v_fma_f64 v[110:111], v[151:152], v[112:113], v[114:115]
	;; [unrolled: 2-line block ×9, first 2 shown]
	ds_write_b128 v236, v[145:148]
	ds_write_b128 v236, v[108:111] offset:528
	ds_write_b128 v236, v[112:115] offset:1056
	;; [unrolled: 1-line block ×8, first 2 shown]
	s_waitcnt lgkmcnt(0)
	s_barrier
	buffer_gl0_inv
	ds_read_b128 v[108:111], v236 offset:528
	ds_read_b128 v[112:115], v236 offset:1056
	;; [unrolled: 1-line block ×6, first 2 shown]
	ds_read_b128 v[132:135], v236
	ds_read_b128 v[136:139], v236 offset:176
	ds_read_b128 v[140:143], v236 offset:352
	s_waitcnt lgkmcnt(0)
	s_barrier
	buffer_gl0_inv
	v_add_f64 v[145:146], v[108:109], v[112:113]
	v_add_f64 v[147:148], v[110:111], v[114:115]
	;; [unrolled: 1-line block ×3, first 2 shown]
	v_add_f64 v[159:160], v[110:111], -v[114:115]
	v_add_f64 v[155:156], v[126:127], v[130:131]
	v_add_f64 v[157:158], v[132:133], v[108:109]
	;; [unrolled: 1-line block ×9, first 2 shown]
	v_fma_f64 v[132:133], v[145:146], -0.5, v[132:133]
	v_add_f64 v[145:146], v[108:109], -v[112:113]
	v_fma_f64 v[134:135], v[147:148], -0.5, v[134:135]
	v_add_f64 v[147:148], v[122:123], -v[118:119]
	;; [unrolled: 2-line block ×3, first 2 shown]
	v_add_f64 v[108:109], v[157:158], v[112:113]
	v_add_f64 v[110:111], v[110:111], v[114:115]
	v_fma_f64 v[142:143], v[155:156], -0.5, v[142:143]
	v_fma_f64 v[136:137], v[149:150], -0.5, v[136:137]
	v_add_f64 v[149:150], v[120:121], -v[116:117]
	v_fma_f64 v[140:141], v[153:154], -0.5, v[140:141]
	v_add_f64 v[153:154], v[124:125], -v[128:129]
	v_add_f64 v[112:113], v[161:162], v[116:117]
	v_add_f64 v[114:115], v[163:164], v[118:119]
	;; [unrolled: 1-line block ×4, first 2 shown]
	v_fma_f64 v[120:121], v[159:160], s[0:1], v[132:133]
	v_fma_f64 v[124:125], v[159:160], s[4:5], v[132:133]
	;; [unrolled: 1-line block ×4, first 2 shown]
	buffer_load_dword v145, off, s[40:43], 0 offset:12 ; 4-byte Folded Reload
	s_waitcnt vmcnt(0)
	ds_write_b128 v145, v[108:111]
	ds_write_b128 v145, v[120:123] offset:16
	ds_write_b128 v145, v[124:127] offset:32
	buffer_load_dword v108, off, s[40:43], 0 offset:4 ; 4-byte Folded Reload
	v_fma_f64 v[128:129], v[147:148], s[0:1], v[136:137]
	v_fma_f64 v[130:131], v[149:150], s[4:5], v[138:139]
	v_fma_f64 v[132:133], v[147:148], s[4:5], v[136:137]
	v_fma_f64 v[134:135], v[149:150], s[0:1], v[138:139]
	v_fma_f64 v[136:137], v[151:152], s[0:1], v[140:141]
	v_fma_f64 v[138:139], v[153:154], s[4:5], v[142:143]
	v_fma_f64 v[140:141], v[151:152], s[4:5], v[140:141]
	v_fma_f64 v[142:143], v[153:154], s[0:1], v[142:143]
	s_waitcnt vmcnt(0)
	ds_write_b128 v108, v[112:115]
	ds_write_b128 v108, v[128:131] offset:16
	ds_write_b128 v108, v[132:135] offset:32
	ds_write_b128 v243, v[116:119]
	ds_write_b128 v243, v[136:139] offset:16
	ds_write_b128 v243, v[140:143] offset:32
	s_waitcnt lgkmcnt(0)
	s_barrier
	buffer_gl0_inv
	ds_read_b128 v[108:111], v236 offset:528
	ds_read_b128 v[112:115], v236 offset:1056
	;; [unrolled: 1-line block ×7, first 2 shown]
	s_waitcnt lgkmcnt(6)
	v_mul_f64 v[136:137], v[50:51], v[110:111]
	s_waitcnt lgkmcnt(5)
	v_mul_f64 v[138:139], v[46:47], v[114:115]
	v_mul_f64 v[50:51], v[50:51], v[108:109]
	v_mul_f64 v[46:47], v[46:47], v[112:113]
	s_waitcnt lgkmcnt(4)
	v_mul_f64 v[140:141], v[42:43], v[118:119]
	s_waitcnt lgkmcnt(3)
	v_mul_f64 v[142:143], v[38:39], v[122:123]
	v_mul_f64 v[42:43], v[42:43], v[116:117]
	v_mul_f64 v[38:39], v[38:39], v[120:121]
	;; [unrolled: 6-line block ×3, first 2 shown]
	v_fma_f64 v[108:109], v[48:49], v[108:109], v[136:137]
	v_fma_f64 v[112:113], v[44:45], v[112:113], v[138:139]
	v_fma_f64 v[48:49], v[48:49], v[110:111], -v[50:51]
	v_fma_f64 v[44:45], v[44:45], v[114:115], -v[46:47]
	v_fma_f64 v[46:47], v[40:41], v[116:117], v[140:141]
	v_fma_f64 v[50:51], v[36:37], v[120:121], v[142:143]
	v_fma_f64 v[110:111], v[40:41], v[118:119], -v[42:43]
	v_fma_f64 v[114:115], v[36:37], v[122:123], -v[38:39]
	ds_read_b128 v[36:39], v236
	ds_read_b128 v[40:43], v236 offset:176
	v_fma_f64 v[116:117], v[60:61], v[124:125], v[145:146]
	v_fma_f64 v[118:119], v[56:57], v[128:129], v[147:148]
	v_fma_f64 v[60:61], v[60:61], v[126:127], -v[62:63]
	v_fma_f64 v[56:57], v[56:57], v[130:131], -v[58:59]
	s_waitcnt lgkmcnt(0)
	s_barrier
	buffer_gl0_inv
	v_add_f64 v[58:59], v[108:109], v[112:113]
	v_add_f64 v[145:146], v[108:109], -v[112:113]
	v_add_f64 v[62:63], v[48:49], v[44:45]
	v_add_f64 v[130:131], v[48:49], -v[44:45]
	v_add_f64 v[120:121], v[46:47], v[50:51]
	v_add_f64 v[48:49], v[38:39], v[48:49]
	v_add_f64 v[149:150], v[110:111], -v[114:115]
	v_add_f64 v[128:129], v[36:37], v[108:109]
	v_add_f64 v[122:123], v[110:111], v[114:115]
	;; [unrolled: 1-line block ×5, first 2 shown]
	v_add_f64 v[153:154], v[60:61], -v[56:57]
	v_add_f64 v[124:125], v[116:117], v[118:119]
	v_add_f64 v[136:137], v[40:41], v[46:47]
	v_add_f64 v[140:141], v[132:133], v[116:117]
	v_add_f64 v[151:152], v[46:47], -v[50:51]
	v_fma_f64 v[58:59], v[58:59], -0.5, v[36:37]
	v_fma_f64 v[147:148], v[62:63], -0.5, v[38:39]
	;; [unrolled: 1-line block ×3, first 2 shown]
	v_add_f64 v[38:39], v[48:49], v[44:45]
	v_add_f64 v[36:37], v[128:129], v[112:113]
	v_fma_f64 v[122:123], v[122:123], -0.5, v[42:43]
	v_add_f64 v[42:43], v[138:139], v[114:115]
	v_add_f64 v[62:63], v[142:143], v[56:57]
	v_fma_f64 v[126:127], v[126:127], -0.5, v[134:135]
	v_fma_f64 v[124:125], v[124:125], -0.5, v[132:133]
	v_add_f64 v[132:133], v[116:117], -v[118:119]
	v_add_f64 v[40:41], v[136:137], v[50:51]
	v_add_f64 v[60:61], v[140:141], v[118:119]
	v_fma_f64 v[108:109], v[130:131], s[0:1], v[58:59]
	v_fma_f64 v[56:57], v[130:131], s[4:5], v[58:59]
	;; [unrolled: 1-line block ×6, first 2 shown]
	buffer_load_dword v120, off, s[40:43], 0 offset:8 ; 4-byte Folded Reload
	s_waitcnt vmcnt(0)
	ds_write_b128 v120, v[36:39]
	ds_write_b128 v120, v[108:111] offset:48
	ds_write_b128 v120, v[56:59] offset:96
	buffer_load_dword v120, off, s[40:43], 0 ; 4-byte Folded Reload
	v_fma_f64 v[46:47], v[151:152], s[4:5], v[122:123]
	v_fma_f64 v[50:51], v[151:152], s[0:1], v[122:123]
	;; [unrolled: 1-line block ×6, first 2 shown]
	s_waitcnt vmcnt(0)
	ds_write_b128 v120, v[40:43]
	ds_write_b128 v120, v[44:47] offset:48
	ds_write_b128 v120, v[48:51] offset:96
	ds_write_b128 v242, v[60:63]
	ds_write_b128 v242, v[112:115] offset:48
	ds_write_b128 v242, v[116:119] offset:96
	s_waitcnt lgkmcnt(0)
	s_barrier
	buffer_gl0_inv
	s_and_saveexec_b32 s0, vcc_lo
	s_cbranch_execz .LBB0_7
; %bb.6:
	ds_read_b128 v[36:39], v236
	ds_read_b128 v[108:111], v236 offset:144
	ds_read_b128 v[56:59], v236 offset:288
	;; [unrolled: 1-line block ×10, first 2 shown]
.LBB0_7:
	s_or_b32 exec_lo, exec_lo, s0
	s_and_saveexec_b32 s33, vcc_lo
	s_cbranch_execz .LBB0_9
; %bb.8:
	s_waitcnt lgkmcnt(9)
	v_mul_f64 v[120:121], v[54:55], v[110:111]
	s_waitcnt lgkmcnt(0)
	v_mul_f64 v[122:123], v[98:99], v[106:107]
	v_mul_f64 v[124:125], v[54:55], v[108:109]
	;; [unrolled: 1-line block ×13, first 2 shown]
	s_mov_b32 s22, 0xfd768dbf
	s_mov_b32 s23, 0xbfd207e7
	;; [unrolled: 1-line block ×8, first 2 shown]
	v_fma_f64 v[108:109], v[52:53], v[108:109], v[120:121]
	v_fma_f64 v[54:55], v[96:97], v[104:105], v[122:123]
	v_fma_f64 v[104:105], v[52:53], v[110:111], -v[124:125]
	v_fma_f64 v[52:53], v[96:97], v[106:107], -v[98:99]
	v_mul_f64 v[96:97], v[66:67], v[42:43]
	v_mul_f64 v[98:99], v[70:71], v[118:119]
	;; [unrolled: 1-line block ×4, first 2 shown]
	v_fma_f64 v[106:107], v[88:89], v[56:57], v[134:135]
	v_fma_f64 v[56:57], v[92:93], v[100:101], v[136:137]
	v_fma_f64 v[88:89], v[88:89], v[58:59], -v[90:91]
	v_fma_f64 v[58:59], v[92:93], v[102:103], -v[94:95]
	v_fma_f64 v[60:61], v[80:81], v[60:61], v[128:129]
	v_fma_f64 v[62:63], v[80:81], v[62:63], -v[82:83]
	v_fma_f64 v[44:45], v[76:77], v[44:45], v[130:131]
	v_fma_f64 v[80:81], v[72:73], v[112:113], v[132:133]
	v_fma_f64 v[46:47], v[76:77], v[46:47], -v[78:79]
	v_fma_f64 v[72:73], v[72:73], v[114:115], -v[74:75]
	v_mul_f64 v[126:127], v[86:87], v[50:51]
	v_mul_f64 v[86:87], v[86:87], v[48:49]
	s_mov_b32 s4, 0x7f775887
	s_mov_b32 s5, 0xbfe4f49e
	s_mov_b32 s27, 0x3fefac9e
	v_add_f64 v[90:91], v[108:109], -v[54:55]
	v_add_f64 v[74:75], v[108:109], v[54:55]
	v_add_f64 v[92:93], v[104:105], -v[52:53]
	v_fma_f64 v[76:77], v[64:65], v[40:41], v[96:97]
	v_fma_f64 v[40:41], v[68:69], v[116:117], v[98:99]
	v_fma_f64 v[64:65], v[64:65], v[42:43], -v[66:67]
	v_fma_f64 v[42:43], v[68:69], v[118:119], -v[70:71]
	v_add_f64 v[70:71], v[104:105], v[52:53]
	v_add_f64 v[66:67], v[106:107], -v[56:57]
	v_add_f64 v[110:111], v[106:107], v[56:57]
	v_add_f64 v[68:69], v[88:89], -v[58:59]
	v_add_f64 v[96:97], v[88:89], v[58:59]
	s_mov_b32 s26, s16
	s_mov_b32 s0, 0x640f44db
	;; [unrolled: 1-line block ×4, first 2 shown]
	v_add_f64 v[100:101], v[46:47], -v[72:73]
	s_mov_b32 s24, 0x8eee2c13
	v_fma_f64 v[50:51], v[84:85], v[50:51], -v[86:87]
	v_add_f64 v[86:87], v[44:45], -v[80:81]
	s_mov_b32 s29, 0xbfe14ced
	s_mov_b32 s31, 0x3fd207e7
	v_mul_f64 v[78:79], v[90:91], s[22:23]
	v_mul_f64 v[132:133], v[90:91], s[14:15]
	v_mul_f64 v[82:83], v[92:93], s[22:23]
	v_mul_f64 v[145:146], v[92:93], s[14:15]
	v_add_f64 v[94:95], v[76:77], -v[40:41]
	v_add_f64 v[130:131], v[76:77], v[40:41]
	v_add_f64 v[102:103], v[64:65], -v[42:43]
	v_add_f64 v[124:125], v[64:65], v[42:43]
	v_mul_f64 v[112:113], v[66:67], s[12:13]
	v_mul_f64 v[159:160], v[90:91], s[16:17]
	;; [unrolled: 1-line block ×5, first 2 shown]
	s_mov_b32 s28, s12
	s_mov_b32 s30, s22
	v_add_f64 v[104:105], v[38:39], v[104:105]
	v_add_f64 v[108:109], v[36:37], v[108:109]
	;; [unrolled: 1-line block ×4, first 2 shown]
	v_mul_f64 v[136:137], v[86:87], s[24:25]
	v_mul_f64 v[142:143], v[100:101], s[24:25]
	;; [unrolled: 1-line block ×3, first 2 shown]
	v_fma_f64 v[120:121], v[70:71], s[18:19], v[78:79]
	v_fma_f64 v[78:79], v[70:71], s[18:19], -v[78:79]
	v_fma_f64 v[122:123], v[74:75], s[18:19], -v[82:83]
	v_fma_f64 v[82:83], v[74:75], s[18:19], v[82:83]
	v_mul_f64 v[138:139], v[94:95], s[14:15]
	v_fma_f64 v[163:164], v[70:71], s[4:5], v[132:133]
	v_mul_f64 v[147:148], v[102:103], s[14:15]
	v_mul_f64 v[157:158], v[94:95], s[28:29]
	v_fma_f64 v[149:150], v[96:97], s[6:7], v[112:113]
	v_fma_f64 v[112:113], v[96:97], s[6:7], -v[112:113]
	v_fma_f64 v[151:152], v[110:111], s[6:7], -v[114:115]
	v_fma_f64 v[114:115], v[110:111], s[6:7], v[114:115]
	v_fma_f64 v[177:178], v[74:75], s[4:5], -v[145:146]
	v_fma_f64 v[132:133], v[70:71], s[4:5], -v[132:133]
	v_fma_f64 v[145:146], v[74:75], s[4:5], v[145:146]
	v_fma_f64 v[181:182], v[96:97], s[0:1], v[161:162]
	v_fma_f64 v[185:186], v[74:75], s[0:1], -v[171:172]
	s_mov_b32 s20, 0xd9c712b6
	s_mov_b32 s21, 0x3fda9628
	v_fma_f64 v[48:49], v[84:85], v[48:49], v[126:127]
	v_add_f64 v[88:89], v[104:105], v[88:89]
	v_add_f64 v[106:107], v[108:109], v[106:107]
	v_add_f64 v[120:121], v[38:39], v[120:121]
	v_add_f64 v[78:79], v[38:39], v[78:79]
	v_add_f64 v[122:123], v[36:37], v[122:123]
	v_add_f64 v[82:83], v[36:37], v[82:83]
	v_fma_f64 v[175:176], v[124:125], s[4:5], v[138:139]
	v_fma_f64 v[138:139], v[124:125], s[4:5], -v[138:139]
	v_fma_f64 v[179:180], v[130:131], s[4:5], -v[147:148]
	v_fma_f64 v[147:148], v[130:131], s[4:5], v[147:148]
	v_add_f64 v[163:164], v[38:39], v[163:164]
	v_mul_f64 v[155:156], v[86:87], s[22:23]
	v_mul_f64 v[167:168], v[102:103], s[28:29]
	;; [unrolled: 1-line block ×3, first 2 shown]
	v_fma_f64 v[104:105], v[118:119], s[20:21], v[136:137]
	v_fma_f64 v[183:184], v[128:129], s[20:21], -v[142:143]
	v_fma_f64 v[136:137], v[118:119], s[20:21], -v[136:137]
	;; [unrolled: 1-line block ×3, first 2 shown]
	v_fma_f64 v[142:143], v[128:129], s[20:21], v[142:143]
	v_fma_f64 v[161:162], v[96:97], s[0:1], -v[161:162]
	v_fma_f64 v[169:170], v[110:111], s[0:1], v[169:170]
	v_add_f64 v[132:133], v[38:39], v[132:133]
	v_add_f64 v[145:146], v[36:37], v[145:146]
	v_add_f64 v[84:85], v[48:49], -v[60:61]
	v_add_f64 v[120:121], v[149:150], v[120:121]
	v_add_f64 v[78:79], v[112:113], v[78:79]
	;; [unrolled: 1-line block ×4, first 2 shown]
	v_mul_f64 v[112:113], v[66:67], s[30:31]
	v_mul_f64 v[149:150], v[68:69], s[30:31]
	v_fma_f64 v[151:152], v[70:71], s[0:1], v[159:160]
	v_mul_f64 v[114:115], v[102:103], s[24:25]
	v_add_f64 v[163:164], v[181:182], v[163:164]
	v_add_f64 v[181:182], v[36:37], v[185:186]
	v_add_f64 v[98:99], v[50:51], -v[62:63]
	v_add_f64 v[64:65], v[88:89], v[64:65]
	v_add_f64 v[76:77], v[106:107], v[76:77]
	v_mul_f64 v[165:166], v[100:101], s[22:23]
	v_add_f64 v[177:178], v[36:37], v[177:178]
	v_fma_f64 v[185:186], v[130:131], s[6:7], -v[167:168]
	v_fma_f64 v[167:168], v[130:131], s[6:7], v[167:168]
	v_fma_f64 v[159:160], v[70:71], s[0:1], -v[159:160]
	v_fma_f64 v[88:89], v[118:119], s[18:19], -v[155:156]
	v_add_f64 v[132:133], v[161:162], v[132:133]
	v_add_f64 v[145:146], v[169:170], v[145:146]
	v_mul_f64 v[153:154], v[84:85], s[24:25]
	v_add_f64 v[120:121], v[175:176], v[120:121]
	v_add_f64 v[78:79], v[138:139], v[78:79]
	;; [unrolled: 1-line block ×4, first 2 shown]
	v_fma_f64 v[138:139], v[96:97], s[18:19], v[112:113]
	v_fma_f64 v[179:180], v[110:111], s[18:19], -v[149:150]
	v_add_f64 v[147:148], v[38:39], v[151:152]
	v_fma_f64 v[151:152], v[124:125], s[6:7], v[157:158]
	v_fma_f64 v[157:158], v[124:125], s[6:7], -v[157:158]
	v_fma_f64 v[169:170], v[130:131], s[20:21], -v[114:115]
	;; [unrolled: 1-line block ×3, first 2 shown]
	v_add_f64 v[46:47], v[64:65], v[46:47]
	v_add_f64 v[44:45], v[76:77], v[44:45]
	v_fma_f64 v[149:150], v[110:111], s[18:19], v[149:150]
	v_add_f64 v[177:178], v[187:188], v[177:178]
	v_mul_f64 v[64:65], v[92:93], s[28:29]
	v_add_f64 v[116:117], v[50:51], v[62:63]
	v_add_f64 v[126:127], v[48:49], v[60:61]
	v_fma_f64 v[114:115], v[130:131], s[20:21], v[114:115]
	v_mul_f64 v[134:135], v[84:85], s[16:17]
	v_add_f64 v[145:146], v[167:168], v[145:146]
	v_mul_f64 v[140:141], v[98:99], s[16:17]
	v_add_f64 v[104:105], v[104:105], v[120:121]
	v_add_f64 v[78:79], v[136:137], v[78:79]
	;; [unrolled: 1-line block ×4, first 2 shown]
	v_mul_f64 v[122:123], v[86:87], s[28:29]
	v_fma_f64 v[136:137], v[74:75], s[0:1], v[171:172]
	v_fma_f64 v[142:143], v[124:125], s[20:21], v[173:174]
	v_add_f64 v[138:139], v[138:139], v[147:148]
	v_fma_f64 v[147:148], v[118:119], s[18:19], v[155:156]
	v_add_f64 v[151:152], v[151:152], v[163:164]
	v_mul_f64 v[163:164], v[100:101], s[28:29]
	v_add_f64 v[171:172], v[179:180], v[181:182]
	v_mul_f64 v[179:180], v[98:99], s[24:25]
	s_mov_b32 s25, 0xbfed1bb4
	v_fma_f64 v[181:182], v[128:129], s[18:19], -v[165:166]
	v_add_f64 v[106:107], v[157:158], v[132:133]
	v_fma_f64 v[132:133], v[128:129], s[18:19], v[165:166]
	v_add_f64 v[155:156], v[38:39], v[159:160]
	v_mul_f64 v[76:77], v[92:93], s[24:25]
	v_add_f64 v[46:47], v[46:47], v[50:51]
	v_add_f64 v[44:45], v[44:45], v[48:49]
	;; [unrolled: 1-line block ×3, first 2 shown]
	v_fma_f64 v[48:49], v[74:75], s[6:7], v[64:65]
	v_fma_f64 v[161:162], v[116:117], s[20:21], v[153:154]
	v_fma_f64 v[92:93], v[116:117], s[20:21], -v[153:154]
	v_fma_f64 v[153:154], v[124:125], s[20:21], -v[173:174]
	v_fma_f64 v[159:160], v[118:119], s[6:7], v[122:123]
	v_add_f64 v[136:137], v[36:37], v[136:137]
	v_fma_f64 v[64:65], v[74:75], s[6:7], -v[64:65]
	v_add_f64 v[138:139], v[142:143], v[138:139]
	v_mul_f64 v[157:158], v[84:85], s[14:15]
	v_add_f64 v[142:143], v[147:148], v[151:152]
	v_mul_f64 v[147:148], v[90:91], s[24:25]
	v_fma_f64 v[165:166], v[128:129], s[6:7], -v[163:164]
	v_add_f64 v[167:168], v[169:170], v[171:172]
	v_mul_f64 v[90:91], v[90:91], s[28:29]
	v_fma_f64 v[169:170], v[126:127], s[20:21], -v[179:180]
	v_add_f64 v[88:89], v[88:89], v[106:107]
	v_fma_f64 v[106:107], v[126:127], s[20:21], v[179:180]
	v_add_f64 v[112:113], v[112:113], v[155:156]
	v_fma_f64 v[50:51], v[74:75], s[20:21], v[76:77]
	v_fma_f64 v[76:77], v[74:75], s[20:21], -v[76:77]
	v_add_f64 v[46:47], v[46:47], v[62:63]
	v_add_f64 v[44:45], v[44:45], v[60:61]
	;; [unrolled: 1-line block ×3, first 2 shown]
	v_mul_f64 v[74:75], v[94:95], s[30:31]
	v_mul_f64 v[94:95], v[94:95], s[16:17]
	v_add_f64 v[48:49], v[36:37], v[48:49]
	v_fma_f64 v[122:123], v[118:119], s[6:7], -v[122:123]
	v_add_f64 v[136:137], v[149:150], v[136:137]
	v_mul_f64 v[149:150], v[66:67], s[14:15]
	v_add_f64 v[138:139], v[159:160], v[138:139]
	v_mul_f64 v[159:160], v[68:69], s[14:15]
	v_mul_f64 v[66:67], v[66:67], s[24:25]
	v_fma_f64 v[155:156], v[70:71], s[20:21], -v[147:148]
	v_mul_f64 v[68:69], v[68:69], s[24:25]
	v_add_f64 v[165:166], v[165:166], v[167:168]
	v_fma_f64 v[167:168], v[70:71], s[6:7], -v[90:91]
	v_fma_f64 v[147:148], v[70:71], s[20:21], v[147:148]
	v_fma_f64 v[70:71], v[70:71], s[6:7], v[90:91]
	v_mul_f64 v[151:152], v[98:99], s[14:15]
	v_add_f64 v[112:113], v[153:154], v[112:113]
	v_fma_f64 v[153:154], v[128:129], s[6:7], v[163:164]
	v_add_f64 v[50:51], v[36:37], v[50:51]
	v_add_f64 v[76:77], v[36:37], v[76:77]
	;; [unrolled: 1-line block ×5, first 2 shown]
	v_mul_f64 v[64:65], v[86:87], s[26:27]
	v_mul_f64 v[86:87], v[86:87], s[14:15]
	v_fma_f64 v[72:73], v[124:125], s[18:19], v[74:75]
	v_add_f64 v[90:91], v[114:115], v[136:137]
	v_mul_f64 v[114:115], v[102:103], s[30:31]
	v_fma_f64 v[136:137], v[96:97], s[4:5], -v[149:150]
	v_mul_f64 v[102:103], v[102:103], s[16:17]
	v_fma_f64 v[177:178], v[96:97], s[20:21], -v[66:67]
	v_add_f64 v[155:156], v[38:39], v[155:156]
	v_fma_f64 v[179:180], v[110:111], s[20:21], v[68:69]
	v_fma_f64 v[163:164], v[110:111], s[4:5], v[159:160]
	v_add_f64 v[167:168], v[38:39], v[167:168]
	v_fma_f64 v[60:61], v[96:97], s[4:5], v[149:150]
	v_add_f64 v[62:63], v[38:39], v[147:148]
	v_fma_f64 v[147:148], v[110:111], s[4:5], -v[159:160]
	v_fma_f64 v[66:67], v[96:97], s[20:21], v[66:67]
	v_add_f64 v[38:39], v[38:39], v[70:71]
	v_fma_f64 v[68:69], v[110:111], s[20:21], -v[68:69]
	v_mul_f64 v[70:71], v[100:101], s[26:27]
	v_fma_f64 v[96:97], v[124:125], s[18:19], -v[74:75]
	v_mul_f64 v[100:101], v[100:101], s[14:15]
	v_fma_f64 v[149:150], v[124:125], s[0:1], -v[94:95]
	v_add_f64 v[42:43], v[46:47], v[42:43]
	v_add_f64 v[40:41], v[44:45], v[40:41]
	v_mul_f64 v[80:81], v[98:99], s[12:13]
	v_mul_f64 v[98:99], v[98:99], s[22:23]
	v_add_f64 v[132:133], v[132:133], v[145:146]
	v_fma_f64 v[108:109], v[116:117], s[0:1], v[134:135]
	v_fma_f64 v[159:160], v[130:131], s[0:1], v[102:103]
	v_fma_f64 v[175:176], v[126:127], s[0:1], -v[140:141]
	v_add_f64 v[110:111], v[136:137], v[155:156]
	v_add_f64 v[48:49], v[179:180], v[48:49]
	v_fma_f64 v[136:137], v[130:131], s[18:19], v[114:115]
	v_add_f64 v[155:156], v[177:178], v[167:168]
	v_add_f64 v[50:51], v[163:164], v[50:51]
	;; [unrolled: 1-line block ×3, first 2 shown]
	v_fma_f64 v[62:63], v[130:131], s[18:19], -v[114:115]
	v_add_f64 v[74:75], v[147:148], v[76:77]
	v_fma_f64 v[76:77], v[124:125], s[0:1], v[94:95]
	v_add_f64 v[38:39], v[66:67], v[38:39]
	v_fma_f64 v[66:67], v[130:131], s[0:1], -v[102:103]
	v_add_f64 v[36:37], v[68:69], v[36:37]
	v_mul_f64 v[68:69], v[84:85], s[12:13]
	v_fma_f64 v[94:95], v[118:119], s[0:1], -v[64:65]
	v_mul_f64 v[84:85], v[84:85], s[22:23]
	v_fma_f64 v[124:125], v[128:129], s[4:5], v[100:101]
	v_fma_f64 v[102:103], v[128:129], s[0:1], v[70:71]
	v_add_f64 v[58:59], v[42:43], v[58:59]
	v_fma_f64 v[134:135], v[116:117], s[0:1], -v[134:135]
	v_fma_f64 v[140:141], v[126:127], s[0:1], v[140:141]
	v_fma_f64 v[145:146], v[116:117], s[4:5], v[157:158]
	v_fma_f64 v[173:174], v[126:127], s[4:5], -v[151:152]
	v_add_f64 v[96:97], v[96:97], v[110:111]
	v_fma_f64 v[110:111], v[118:119], s[4:5], -v[86:87]
	v_add_f64 v[44:45], v[159:160], v[48:49]
	v_add_f64 v[114:115], v[149:150], v[155:156]
	;; [unrolled: 1-line block ×3, first 2 shown]
	v_fma_f64 v[48:49], v[118:119], s[0:1], v[64:65]
	v_add_f64 v[50:51], v[72:73], v[60:61]
	v_fma_f64 v[60:61], v[128:129], s[0:1], -v[70:71]
	v_add_f64 v[62:63], v[62:63], v[74:75]
	v_fma_f64 v[64:65], v[118:119], s[4:5], v[86:87]
	v_add_f64 v[38:39], v[76:77], v[38:39]
	v_fma_f64 v[70:71], v[128:129], s[4:5], -v[100:101]
	v_add_f64 v[36:37], v[66:67], v[36:37]
	v_fma_f64 v[66:67], v[116:117], s[4:5], -v[157:158]
	v_add_f64 v[72:73], v[122:123], v[112:113]
	v_add_f64 v[112:113], v[40:41], v[56:57]
	;; [unrolled: 1-line block ×3, first 2 shown]
	v_fma_f64 v[86:87], v[116:117], s[6:7], -v[68:69]
	v_fma_f64 v[74:75], v[126:127], s[4:5], v[151:152]
	v_fma_f64 v[118:119], v[116:117], s[6:7], v[68:69]
	v_add_f64 v[68:69], v[58:59], v[52:53]
	v_add_f64 v[42:43], v[134:135], v[78:79]
	;; [unrolled: 1-line block ×3, first 2 shown]
	v_fma_f64 v[96:97], v[116:117], s[18:19], -v[84:85]
	v_fma_f64 v[94:95], v[126:127], s[6:7], v[80:81]
	v_add_f64 v[100:101], v[110:111], v[114:115]
	v_fma_f64 v[110:111], v[126:127], s[18:19], v[98:99]
	v_add_f64 v[114:115], v[124:125], v[44:45]
	v_add_f64 v[102:103], v[102:103], v[46:47]
	;; [unrolled: 1-line block ×3, first 2 shown]
	v_fma_f64 v[80:81], v[126:127], s[6:7], -v[80:81]
	v_add_f64 v[124:125], v[60:61], v[62:63]
	v_fma_f64 v[84:85], v[116:117], s[18:19], v[84:85]
	v_add_f64 v[116:117], v[64:65], v[38:39]
	v_fma_f64 v[98:99], v[126:127], s[18:19], -v[98:99]
	v_add_f64 v[126:127], v[70:71], v[36:37]
	v_add_f64 v[56:57], v[66:67], v[72:73]
	;; [unrolled: 1-line block ×19, first 2 shown]
	v_lshl_add_u32 v52, v241, 4, v235
	v_add_f64 v[80:81], v[84:85], v[116:117]
	v_add_f64 v[78:79], v[98:99], v[126:127]
	ds_write_b128 v236, v[66:69]
	ds_write_b128 v52, v[62:65] offset:144
	ds_write_b128 v52, v[58:61] offset:288
	;; [unrolled: 1-line block ×10, first 2 shown]
.LBB0_9:
	s_or_b32 exec_lo, exec_lo, s33
	s_waitcnt lgkmcnt(0)
	s_barrier
	buffer_gl0_inv
	ds_read_b128 v[36:39], v236
	ds_read_b128 v[40:43], v236 offset:528
	ds_read_b128 v[44:47], v236 offset:1056
	;; [unrolled: 1-line block ×8, first 2 shown]
	s_clause 0x7
	buffer_load_dword v4, off, s[40:43], 0 offset:32
	buffer_load_dword v5, off, s[40:43], 0 offset:36
	;; [unrolled: 1-line block ×8, first 2 shown]
	v_mad_u64_u32 v[72:73], null, s10, v144, 0
	v_mad_u64_u32 v[74:75], null, s8, v241, 0
	s_mov_b32 s0, 0xa052bf5b
	s_mov_b32 s1, 0x3f84afd6
	s_mul_i32 s4, s9, 0x210
	s_mul_hi_u32 s5, s8, 0x210
	s_mul_i32 s6, s8, 0x210
	s_add_i32 s5, s5, s4
	v_mad_u64_u32 v[80:81], null, s11, v144, v[73:74]
	s_waitcnt lgkmcnt(8)
	v_mul_f64 v[76:77], v[18:19], v[38:39]
	v_mul_f64 v[18:19], v[18:19], v[36:37]
	s_waitcnt lgkmcnt(7)
	v_mul_f64 v[78:79], v[26:27], v[42:43]
	v_mul_f64 v[26:27], v[26:27], v[40:41]
	v_mov_b32_e32 v73, v80
	v_mad_u64_u32 v[81:82], null, s9, v241, v[75:76]
	s_waitcnt lgkmcnt(6)
	v_mul_f64 v[82:83], v[22:23], v[46:47]
	v_mul_f64 v[22:23], v[22:23], v[44:45]
	v_fma_f64 v[36:37], v[16:17], v[36:37], v[76:77]
	v_fma_f64 v[16:17], v[16:17], v[38:39], -v[18:19]
	v_fma_f64 v[18:19], v[24:25], v[40:41], v[78:79]
	v_fma_f64 v[24:25], v[24:25], v[42:43], -v[26:27]
	v_lshlrev_b64 v[26:27], 4, v[72:73]
	v_mov_b32_e32 v75, v81
	s_waitcnt lgkmcnt(2)
	v_mul_f64 v[38:39], v[10:11], v[62:63]
	v_mul_f64 v[10:11], v[10:11], v[60:61]
	;; [unrolled: 1-line block ×3, first 2 shown]
	v_add_co_u32 v72, vcc_lo, s2, v26
	v_lshlrev_b64 v[42:43], 4, v[74:75]
	v_add_co_ci_u32_e32 v73, vcc_lo, s3, v27, vcc_lo
	v_mul_f64 v[26:27], v[14:15], v[56:57]
	s_mul_i32 s2, s9, 0xfffffc90
	v_add_co_u32 v42, vcc_lo, v72, v42
	v_fma_f64 v[44:45], v[20:21], v[44:45], v[82:83]
	v_fma_f64 v[22:23], v[20:21], v[46:47], -v[22:23]
	v_mul_f64 v[14:15], v[36:37], s[0:1]
	s_waitcnt lgkmcnt(0)
	v_mul_f64 v[36:37], v[34:35], v[70:71]
	v_mul_f64 v[34:35], v[34:35], v[68:69]
	;; [unrolled: 1-line block ×5, first 2 shown]
	v_add_co_ci_u32_e32 v43, vcc_lo, v73, v43, vcc_lo
	v_fma_f64 v[38:39], v[8:9], v[60:61], v[38:39]
	v_fma_f64 v[60:61], v[8:9], v[62:63], -v[10:11]
	v_fma_f64 v[40:41], v[12:13], v[56:57], v[40:41]
	s_sub_i32 s2, s2, s8
	v_mul_f64 v[16:17], v[16:17], s[0:1]
	v_mul_f64 v[18:19], v[18:19], s[0:1]
	v_fma_f64 v[12:13], v[12:13], v[58:59], -v[26:27]
	v_fma_f64 v[36:37], v[32:33], v[68:69], v[36:37]
	v_fma_f64 v[58:59], v[32:33], v[70:71], -v[34:35]
	v_fma_f64 v[56:57], v[28:29], v[66:67], -v[30:31]
	v_mul_f64 v[26:27], v[40:41], s[0:1]
	v_mul_f64 v[34:35], v[36:37], s[0:1]
	;; [unrolled: 1-line block ×4, first 2 shown]
	s_waitcnt vmcnt(4)
	v_mul_f64 v[84:85], v[6:7], v[50:51]
	v_mul_f64 v[6:7], v[6:7], v[48:49]
	s_waitcnt vmcnt(0)
	v_mul_f64 v[86:87], v[2:3], v[54:55]
	v_mul_f64 v[2:3], v[2:3], v[52:53]
	v_fma_f64 v[46:47], v[4:5], v[48:49], v[84:85]
	v_add_co_u32 v48, vcc_lo, v42, s6
	v_fma_f64 v[6:7], v[4:5], v[50:51], -v[6:7]
	v_fma_f64 v[50:51], v[0:1], v[52:53], v[86:87]
	v_add_co_ci_u32_e32 v49, vcc_lo, s5, v43, vcc_lo
	v_fma_f64 v[52:53], v[0:1], v[54:55], -v[2:3]
	v_add_co_u32 v54, vcc_lo, v48, s6
	v_add_co_ci_u32_e32 v55, vcc_lo, s5, v49, vcc_lo
	v_mul_f64 v[0:1], v[44:45], s[0:1]
	v_mul_f64 v[2:3], v[22:23], s[0:1]
	;; [unrolled: 1-line block ×3, first 2 shown]
	v_mad_u64_u32 v[44:45], null, 0xfffffc90, s8, v[54:55]
	global_store_dwordx4 v[42:43], v[14:17], off
	global_store_dwordx4 v[48:49], v[18:21], off
	v_mul_f64 v[4:5], v[46:47], s[0:1]
	v_fma_f64 v[46:47], v[28:29], v[64:65], v[24:25]
	v_add_nc_u32_e32 v45, s2, v45
	v_mul_f64 v[6:7], v[6:7], s[0:1]
	v_mul_f64 v[8:9], v[50:51], s[0:1]
	v_add_co_u32 v50, vcc_lo, v44, s6
	v_add_co_ci_u32_e32 v51, vcc_lo, s5, v45, vcc_lo
	v_mul_f64 v[10:11], v[52:53], s[0:1]
	v_add_co_u32 v38, vcc_lo, v50, s6
	v_add_co_ci_u32_e32 v39, vcc_lo, s5, v51, vcc_lo
	v_mul_f64 v[24:25], v[60:61], s[0:1]
	v_mul_f64 v[28:29], v[12:13], s[0:1]
	global_store_dwordx4 v[54:55], v[0:3], off
	v_mad_u64_u32 v[12:13], null, 0xfffffc90, s8, v[38:39]
	v_mul_f64 v[30:31], v[46:47], s[0:1]
	v_add_nc_u32_e32 v13, s2, v13
	v_add_co_u32 v0, vcc_lo, v12, s6
	global_store_dwordx4 v[44:45], v[4:7], off
	v_add_co_ci_u32_e32 v1, vcc_lo, s5, v13, vcc_lo
	v_add_co_u32 v2, vcc_lo, v0, s6
	v_add_co_ci_u32_e32 v3, vcc_lo, s5, v1, vcc_lo
	global_store_dwordx4 v[50:51], v[8:11], off
	global_store_dwordx4 v[38:39], v[22:25], off
	;; [unrolled: 1-line block ×5, first 2 shown]
.LBB0_10:
	s_endpgm
	.section	.rodata,"a",@progbits
	.p2align	6, 0x0
	.amdhsa_kernel bluestein_single_back_len99_dim1_dp_op_CI_CI
		.amdhsa_group_segment_fixed_size 31680
		.amdhsa_private_segment_fixed_size 76
		.amdhsa_kernarg_size 104
		.amdhsa_user_sgpr_count 6
		.amdhsa_user_sgpr_private_segment_buffer 1
		.amdhsa_user_sgpr_dispatch_ptr 0
		.amdhsa_user_sgpr_queue_ptr 0
		.amdhsa_user_sgpr_kernarg_segment_ptr 1
		.amdhsa_user_sgpr_dispatch_id 0
		.amdhsa_user_sgpr_flat_scratch_init 0
		.amdhsa_user_sgpr_private_segment_size 0
		.amdhsa_wavefront_size32 1
		.amdhsa_uses_dynamic_stack 0
		.amdhsa_system_sgpr_private_segment_wavefront_offset 1
		.amdhsa_system_sgpr_workgroup_id_x 1
		.amdhsa_system_sgpr_workgroup_id_y 0
		.amdhsa_system_sgpr_workgroup_id_z 0
		.amdhsa_system_sgpr_workgroup_info 0
		.amdhsa_system_vgpr_workitem_id 0
		.amdhsa_next_free_vgpr 256
		.amdhsa_next_free_sgpr 44
		.amdhsa_reserve_vcc 1
		.amdhsa_reserve_flat_scratch 0
		.amdhsa_float_round_mode_32 0
		.amdhsa_float_round_mode_16_64 0
		.amdhsa_float_denorm_mode_32 3
		.amdhsa_float_denorm_mode_16_64 3
		.amdhsa_dx10_clamp 1
		.amdhsa_ieee_mode 1
		.amdhsa_fp16_overflow 0
		.amdhsa_workgroup_processor_mode 1
		.amdhsa_memory_ordered 1
		.amdhsa_forward_progress 0
		.amdhsa_shared_vgpr_count 0
		.amdhsa_exception_fp_ieee_invalid_op 0
		.amdhsa_exception_fp_denorm_src 0
		.amdhsa_exception_fp_ieee_div_zero 0
		.amdhsa_exception_fp_ieee_overflow 0
		.amdhsa_exception_fp_ieee_underflow 0
		.amdhsa_exception_fp_ieee_inexact 0
		.amdhsa_exception_int_div_zero 0
	.end_amdhsa_kernel
	.text
.Lfunc_end0:
	.size	bluestein_single_back_len99_dim1_dp_op_CI_CI, .Lfunc_end0-bluestein_single_back_len99_dim1_dp_op_CI_CI
                                        ; -- End function
	.section	.AMDGPU.csdata,"",@progbits
; Kernel info:
; codeLenInByte = 12160
; NumSgprs: 46
; NumVgprs: 256
; ScratchSize: 76
; MemoryBound: 0
; FloatMode: 240
; IeeeMode: 1
; LDSByteSize: 31680 bytes/workgroup (compile time only)
; SGPRBlocks: 5
; VGPRBlocks: 31
; NumSGPRsForWavesPerEU: 46
; NumVGPRsForWavesPerEU: 256
; Occupancy: 4
; WaveLimiterHint : 1
; COMPUTE_PGM_RSRC2:SCRATCH_EN: 1
; COMPUTE_PGM_RSRC2:USER_SGPR: 6
; COMPUTE_PGM_RSRC2:TRAP_HANDLER: 0
; COMPUTE_PGM_RSRC2:TGID_X_EN: 1
; COMPUTE_PGM_RSRC2:TGID_Y_EN: 0
; COMPUTE_PGM_RSRC2:TGID_Z_EN: 0
; COMPUTE_PGM_RSRC2:TIDIG_COMP_CNT: 0
	.text
	.p2alignl 6, 3214868480
	.fill 48, 4, 3214868480
	.type	__hip_cuid_10dab81d5348b16d,@object ; @__hip_cuid_10dab81d5348b16d
	.section	.bss,"aw",@nobits
	.globl	__hip_cuid_10dab81d5348b16d
__hip_cuid_10dab81d5348b16d:
	.byte	0                               ; 0x0
	.size	__hip_cuid_10dab81d5348b16d, 1

	.ident	"AMD clang version 19.0.0git (https://github.com/RadeonOpenCompute/llvm-project roc-6.4.0 25133 c7fe45cf4b819c5991fe208aaa96edf142730f1d)"
	.section	".note.GNU-stack","",@progbits
	.addrsig
	.addrsig_sym __hip_cuid_10dab81d5348b16d
	.amdgpu_metadata
---
amdhsa.kernels:
  - .args:
      - .actual_access:  read_only
        .address_space:  global
        .offset:         0
        .size:           8
        .value_kind:     global_buffer
      - .actual_access:  read_only
        .address_space:  global
        .offset:         8
        .size:           8
        .value_kind:     global_buffer
      - .actual_access:  read_only
        .address_space:  global
        .offset:         16
        .size:           8
        .value_kind:     global_buffer
      - .actual_access:  read_only
        .address_space:  global
        .offset:         24
        .size:           8
        .value_kind:     global_buffer
      - .actual_access:  read_only
        .address_space:  global
        .offset:         32
        .size:           8
        .value_kind:     global_buffer
      - .offset:         40
        .size:           8
        .value_kind:     by_value
      - .address_space:  global
        .offset:         48
        .size:           8
        .value_kind:     global_buffer
      - .address_space:  global
        .offset:         56
        .size:           8
        .value_kind:     global_buffer
      - .address_space:  global
        .offset:         64
        .size:           8
        .value_kind:     global_buffer
      - .address_space:  global
        .offset:         72
        .size:           8
        .value_kind:     global_buffer
      - .offset:         80
        .size:           4
        .value_kind:     by_value
      - .address_space:  global
        .offset:         88
        .size:           8
        .value_kind:     global_buffer
      - .address_space:  global
        .offset:         96
        .size:           8
        .value_kind:     global_buffer
    .group_segment_fixed_size: 31680
    .kernarg_segment_align: 8
    .kernarg_segment_size: 104
    .language:       OpenCL C
    .language_version:
      - 2
      - 0
    .max_flat_workgroup_size: 220
    .name:           bluestein_single_back_len99_dim1_dp_op_CI_CI
    .private_segment_fixed_size: 76
    .sgpr_count:     46
    .sgpr_spill_count: 0
    .symbol:         bluestein_single_back_len99_dim1_dp_op_CI_CI.kd
    .uniform_work_group_size: 1
    .uses_dynamic_stack: false
    .vgpr_count:     256
    .vgpr_spill_count: 18
    .wavefront_size: 32
    .workgroup_processor_mode: 1
amdhsa.target:   amdgcn-amd-amdhsa--gfx1030
amdhsa.version:
  - 1
  - 2
...

	.end_amdgpu_metadata
